;; amdgpu-corpus repo=ROCm/rocFFT kind=compiled arch=gfx950 opt=O3
	.text
	.amdgcn_target "amdgcn-amd-amdhsa--gfx950"
	.amdhsa_code_object_version 6
	.protected	fft_rtc_back_len121_factors_11_11_wgs_121_tpt_11_sp_ip_CI_sbcc_twdbase6_3step_dirReg_intrinsicRead ; -- Begin function fft_rtc_back_len121_factors_11_11_wgs_121_tpt_11_sp_ip_CI_sbcc_twdbase6_3step_dirReg_intrinsicRead
	.globl	fft_rtc_back_len121_factors_11_11_wgs_121_tpt_11_sp_ip_CI_sbcc_twdbase6_3step_dirReg_intrinsicRead
	.p2align	8
	.type	fft_rtc_back_len121_factors_11_11_wgs_121_tpt_11_sp_ip_CI_sbcc_twdbase6_3step_dirReg_intrinsicRead,@function
fft_rtc_back_len121_factors_11_11_wgs_121_tpt_11_sp_ip_CI_sbcc_twdbase6_3step_dirReg_intrinsicRead: ; @fft_rtc_back_len121_factors_11_11_wgs_121_tpt_11_sp_ip_CI_sbcc_twdbase6_3step_dirReg_intrinsicRead
; %bb.0:
	s_load_dwordx2 s[16:17], s[0:1], 0x58
	s_load_dwordx2 s[44:45], s[0:1], 0x0
	s_load_dwordx8 s[4:11], s[0:1], 0x8
	s_movk_i32 s0, 0xc0
	v_cmp_gt_u32_e32 vcc, s0, v0
	s_and_saveexec_b64 s[0:1], vcc
	s_cbranch_execz .LBB0_3
; %bb.1:
	s_movk_i32 s12, 0xff87
	v_mov_b32_e32 v1, 0
	s_mov_b32 s13, -1
	v_lshlrev_b32_e32 v6, 3, v0
	v_lshl_add_u64 v[2:3], v[0:1], 0, s[12:13]
	v_mov_b32_e32 v7, v1
	v_add_u32_e32 v1, 0, v6
	s_waitcnt lgkmcnt(0)
	v_lshl_add_u64 v[4:5], s[4:5], 0, v[6:7]
	v_add_u32_e32 v1, 0x2998, v1
	s_mov_b64 s[4:5], 0
	s_mov_b64 s[12:13], 0x79
	;; [unrolled: 1-line block ×4, first 2 shown]
.LBB0_2:                                ; =>This Inner Loop Header: Depth=1
	global_load_dwordx2 v[6:7], v[4:5], off
	v_lshl_add_u64 v[2:3], v[2:3], 0, s[12:13]
	v_cmp_lt_u64_e32 vcc, s[18:19], v[2:3]
	v_lshl_add_u64 v[4:5], v[4:5], 0, s[14:15]
	s_or_b64 s[4:5], vcc, s[4:5]
	s_waitcnt vmcnt(0)
	ds_write_b64 v1, v[6:7]
	v_add_u32_e32 v1, 0x3c8, v1
	s_andn2_b64 exec, exec, s[4:5]
	s_cbranch_execnz .LBB0_2
.LBB0_3:
	s_or_b64 exec, exec, s[0:1]
	s_waitcnt lgkmcnt(0)
	s_load_dwordx2 s[4:5], s[8:9], 0x8
	s_mov_b32 s3, 0
	s_mov_b64 s[22:23], 0
	s_waitcnt lgkmcnt(0)
	s_add_u32 s0, s4, -1
	s_addc_u32 s1, s5, -1
	s_add_u32 s12, 0, 0x5d161400
	s_addc_u32 s13, 0, 0x54
	s_mul_hi_u32 s15, s12, -11
	s_add_i32 s13, s13, 0x1745d120
	s_sub_i32 s15, s15, s12
	s_mul_i32 s20, s13, -11
	s_mul_i32 s14, s12, -11
	s_add_i32 s15, s15, s20
	s_mul_hi_u32 s18, s13, s14
	s_mul_i32 s19, s13, s14
	s_mul_i32 s21, s12, s15
	s_mul_hi_u32 s14, s12, s14
	s_mul_hi_u32 s20, s12, s15
	s_add_u32 s14, s14, s21
	s_addc_u32 s20, 0, s20
	s_add_u32 s14, s14, s19
	s_mul_hi_u32 s21, s13, s15
	s_addc_u32 s14, s20, s18
	s_addc_u32 s18, s21, 0
	s_mul_i32 s15, s13, s15
	s_add_u32 s14, s14, s15
	v_mov_b32_e32 v1, s14
	s_addc_u32 s15, 0, s18
	v_add_co_u32_e32 v1, vcc, s12, v1
	s_cmp_lg_u64 vcc, 0
	s_addc_u32 s12, s13, s15
	v_readfirstlane_b32 s15, v1
	s_mul_i32 s14, s0, s12
	s_mul_hi_u32 s18, s0, s15
	s_mul_hi_u32 s13, s0, s12
	s_add_u32 s14, s18, s14
	s_addc_u32 s13, 0, s13
	s_mul_hi_u32 s19, s1, s15
	s_mul_i32 s15, s1, s15
	s_add_u32 s14, s14, s15
	s_mul_hi_u32 s18, s1, s12
	s_addc_u32 s13, s13, s19
	s_addc_u32 s14, s18, 0
	s_mul_i32 s12, s1, s12
	s_add_u32 s12, s13, s12
	s_addc_u32 s13, 0, s14
	s_add_u32 s14, s12, 1
	s_addc_u32 s15, s13, 0
	s_add_u32 s18, s12, 2
	s_mul_i32 s20, s13, 11
	s_mul_hi_u32 s21, s12, 11
	s_addc_u32 s19, s13, 0
	s_add_i32 s21, s21, s20
	s_mul_i32 s20, s12, 11
	v_mov_b32_e32 v1, s20
	v_sub_co_u32_e32 v1, vcc, s0, v1
	s_cmp_lg_u64 vcc, 0
	s_subb_u32 s0, s1, s21
	v_subrev_co_u32_e32 v2, vcc, 11, v1
	s_cmp_lg_u64 vcc, 0
	s_subb_u32 s1, s0, 0
	v_readfirstlane_b32 s20, v2
	s_cmp_gt_u32 s20, 10
	s_cselect_b32 s20, -1, 0
	s_cmp_eq_u32 s1, 0
	s_cselect_b32 s1, s20, -1
	s_cmp_lg_u32 s1, 0
	s_cselect_b32 s1, s18, s14
	s_cselect_b32 s14, s19, s15
	v_readfirstlane_b32 s15, v1
	s_cmp_gt_u32 s15, 10
	s_cselect_b32 s15, -1, 0
	s_cmp_eq_u32 s0, 0
	s_cselect_b32 s0, s15, -1
	s_cmp_lg_u32 s0, 0
	s_cselect_b32 s1, s1, s12
	s_cselect_b32 s0, s14, s13
	s_add_u32 s18, s1, 1
	s_addc_u32 s19, s0, 0
	v_mov_b64_e32 v[2:3], s[18:19]
	v_cmp_lt_u64_e32 vcc, s[2:3], v[2:3]
	s_cbranch_vccnz .LBB0_5
; %bb.4:
	v_cvt_f32_u32_e32 v1, s18
	s_sub_i32 s0, 0, s18
	s_mov_b32 s23, s3
	v_rcp_iflag_f32_e32 v1, v1
	s_nop 0
	v_mul_f32_e32 v1, 0x4f7ffffe, v1
	v_cvt_u32_f32_e32 v1, v1
	s_nop 0
	v_readfirstlane_b32 s1, v1
	s_mul_i32 s0, s0, s1
	s_mul_hi_u32 s0, s1, s0
	s_add_i32 s1, s1, s0
	s_mul_hi_u32 s0, s2, s1
	s_mul_i32 s12, s0, s18
	s_sub_i32 s12, s2, s12
	s_add_i32 s1, s0, 1
	s_sub_i32 s13, s12, s18
	s_cmp_ge_u32 s12, s18
	s_cselect_b32 s0, s1, s0
	s_cselect_b32 s12, s13, s12
	s_add_i32 s1, s0, 1
	s_cmp_ge_u32 s12, s18
	s_cselect_b32 s22, s1, s0
.LBB0_5:
	s_mul_i32 s0, s22, s19
	s_mul_hi_u32 s1, s22, s18
	s_load_dwordx4 s[12:15], s[10:11], 0x0
	s_add_i32 s1, s1, s0
	s_mul_i32 s0, s22, s18
	s_sub_u32 s0, s2, s0
	s_subb_u32 s1, 0, s1
	s_mul_i32 s1, s1, 11
	s_mul_hi_u32 s20, s0, 11
	s_add_i32 s21, s20, s1
	s_mul_i32 s20, s0, 11
	s_waitcnt lgkmcnt(0)
	s_mul_i32 s0, s14, s21
	s_mul_hi_u32 s1, s14, s20
	s_add_i32 s0, s1, s0
	s_mul_i32 s1, s15, s20
	s_add_i32 s33, s0, s1
	v_cmp_lt_u64_e64 s[0:1], s[6:7], 3
	s_mul_i32 s36, s14, s20
	s_and_b64 vcc, exec, s[0:1]
	s_cbranch_vccnz .LBB0_15
; %bb.6:
	s_add_u32 s24, s10, 16
	s_addc_u32 s25, s11, 0
	s_add_u32 s8, s8, 16
	s_addc_u32 s9, s9, 0
	s_mov_b64 s[26:27], 2
	s_mov_b32 s28, 0
	v_mov_b64_e32 v[2:3], s[6:7]
.LBB0_7:                                ; =>This Inner Loop Header: Depth=1
	s_load_dwordx2 s[30:31], s[8:9], 0x0
	s_waitcnt lgkmcnt(0)
	s_or_b64 s[0:1], s[22:23], s[30:31]
	s_mov_b32 s29, s1
	s_cmp_lg_u64 s[28:29], 0
	s_cbranch_scc0 .LBB0_12
; %bb.8:                                ;   in Loop: Header=BB0_7 Depth=1
	v_cvt_f32_u32_e32 v1, s30
	v_cvt_f32_u32_e32 v4, s31
	s_sub_u32 s0, 0, s30
	s_subb_u32 s1, 0, s31
	v_fmac_f32_e32 v1, 0x4f800000, v4
	v_rcp_f32_e32 v1, v1
	s_nop 0
	v_mul_f32_e32 v1, 0x5f7ffffc, v1
	v_mul_f32_e32 v4, 0x2f800000, v1
	v_trunc_f32_e32 v4, v4
	v_fmac_f32_e32 v1, 0xcf800000, v4
	v_cvt_u32_f32_e32 v4, v4
	v_cvt_u32_f32_e32 v1, v1
	v_readfirstlane_b32 s29, v4
	v_readfirstlane_b32 s34, v1
	s_mul_i32 s35, s0, s29
	s_mul_hi_u32 s38, s0, s34
	s_mul_i32 s37, s1, s34
	s_add_i32 s35, s38, s35
	s_mul_i32 s39, s0, s34
	s_add_i32 s35, s35, s37
	s_mul_hi_u32 s37, s34, s35
	s_mul_i32 s38, s34, s35
	s_mul_hi_u32 s34, s34, s39
	s_add_u32 s34, s34, s38
	s_addc_u32 s37, 0, s37
	s_mul_hi_u32 s40, s29, s39
	s_mul_i32 s39, s29, s39
	s_add_u32 s34, s34, s39
	s_mul_hi_u32 s38, s29, s35
	s_addc_u32 s34, s37, s40
	s_addc_u32 s37, s38, 0
	s_mul_i32 s35, s29, s35
	s_add_u32 s34, s34, s35
	s_addc_u32 s35, 0, s37
	v_add_co_u32_e32 v1, vcc, s34, v1
	s_cmp_lg_u64 vcc, 0
	s_addc_u32 s29, s29, s35
	v_readfirstlane_b32 s35, v1
	s_mul_i32 s34, s0, s29
	s_mul_hi_u32 s37, s0, s35
	s_add_i32 s34, s37, s34
	s_mul_i32 s1, s1, s35
	s_add_i32 s34, s34, s1
	s_mul_i32 s0, s0, s35
	s_mul_hi_u32 s37, s29, s0
	s_mul_i32 s38, s29, s0
	s_mul_i32 s40, s35, s34
	s_mul_hi_u32 s0, s35, s0
	s_mul_hi_u32 s39, s35, s34
	s_add_u32 s0, s0, s40
	s_addc_u32 s35, 0, s39
	s_add_u32 s0, s0, s38
	s_mul_hi_u32 s1, s29, s34
	s_addc_u32 s0, s35, s37
	s_addc_u32 s1, s1, 0
	s_mul_i32 s34, s29, s34
	s_add_u32 s0, s0, s34
	s_addc_u32 s1, 0, s1
	v_add_co_u32_e32 v1, vcc, s0, v1
	s_cmp_lg_u64 vcc, 0
	s_addc_u32 s0, s29, s1
	v_readfirstlane_b32 s34, v1
	s_mul_i32 s29, s22, s0
	s_mul_hi_u32 s35, s22, s34
	s_mul_hi_u32 s1, s22, s0
	s_add_u32 s29, s35, s29
	s_addc_u32 s1, 0, s1
	s_mul_hi_u32 s37, s23, s34
	s_mul_i32 s34, s23, s34
	s_add_u32 s29, s29, s34
	s_mul_hi_u32 s35, s23, s0
	s_addc_u32 s1, s1, s37
	s_addc_u32 s29, s35, 0
	s_mul_i32 s0, s23, s0
	s_add_u32 s34, s1, s0
	s_addc_u32 s29, 0, s29
	s_mul_i32 s0, s30, s29
	s_mul_hi_u32 s1, s30, s34
	s_add_i32 s0, s1, s0
	s_mul_i32 s1, s31, s34
	s_add_i32 s35, s0, s1
	s_mul_i32 s1, s30, s34
	v_mov_b32_e32 v1, s1
	s_sub_i32 s0, s23, s35
	v_sub_co_u32_e32 v1, vcc, s22, v1
	s_cmp_lg_u64 vcc, 0
	s_subb_u32 s37, s0, s31
	v_subrev_co_u32_e64 v4, s[0:1], s30, v1
	s_cmp_lg_u64 s[0:1], 0
	s_subb_u32 s0, s37, 0
	s_cmp_ge_u32 s0, s31
	v_readfirstlane_b32 s37, v4
	s_cselect_b32 s1, -1, 0
	s_cmp_ge_u32 s37, s30
	s_cselect_b32 s37, -1, 0
	s_cmp_eq_u32 s0, s31
	s_cselect_b32 s0, s37, s1
	s_add_u32 s1, s34, 1
	s_addc_u32 s37, s29, 0
	s_add_u32 s38, s34, 2
	s_addc_u32 s39, s29, 0
	s_cmp_lg_u32 s0, 0
	s_cselect_b32 s0, s38, s1
	s_cselect_b32 s1, s39, s37
	s_cmp_lg_u64 vcc, 0
	s_subb_u32 s35, s23, s35
	s_cmp_ge_u32 s35, s31
	v_readfirstlane_b32 s38, v1
	s_cselect_b32 s37, -1, 0
	s_cmp_ge_u32 s38, s30
	s_cselect_b32 s38, -1, 0
	s_cmp_eq_u32 s35, s31
	s_cselect_b32 s35, s38, s37
	s_cmp_lg_u32 s35, 0
	s_cselect_b32 s1, s1, s29
	s_cselect_b32 s0, s0, s34
	s_cbranch_execnz .LBB0_10
.LBB0_9:                                ;   in Loop: Header=BB0_7 Depth=1
	v_cvt_f32_u32_e32 v1, s30
	s_sub_i32 s0, 0, s30
	v_rcp_iflag_f32_e32 v1, v1
	s_nop 0
	v_mul_f32_e32 v1, 0x4f7ffffe, v1
	v_cvt_u32_f32_e32 v1, v1
	s_nop 0
	v_readfirstlane_b32 s1, v1
	s_mul_i32 s0, s0, s1
	s_mul_hi_u32 s0, s1, s0
	s_add_i32 s1, s1, s0
	s_mul_hi_u32 s0, s22, s1
	s_mul_i32 s29, s0, s30
	s_sub_i32 s29, s22, s29
	s_add_i32 s1, s0, 1
	s_sub_i32 s34, s29, s30
	s_cmp_ge_u32 s29, s30
	s_cselect_b32 s0, s1, s0
	s_cselect_b32 s29, s34, s29
	s_add_i32 s1, s0, 1
	s_cmp_ge_u32 s29, s30
	s_cselect_b32 s0, s1, s0
	s_mov_b32 s1, s28
.LBB0_10:                               ;   in Loop: Header=BB0_7 Depth=1
	s_mul_i32 s19, s30, s19
	s_mul_hi_u32 s29, s30, s18
	s_add_i32 s19, s29, s19
	s_mul_i32 s29, s31, s18
	s_add_i32 s19, s19, s29
	s_mul_i32 s29, s0, s31
	s_mul_hi_u32 s31, s0, s30
	s_load_dwordx2 s[34:35], s[24:25], 0x0
	s_add_i32 s29, s31, s29
	s_mul_i32 s31, s1, s30
	s_mul_i32 s18, s30, s18
	s_add_i32 s29, s29, s31
	s_mul_i32 s30, s0, s30
	s_sub_u32 s22, s22, s30
	s_subb_u32 s23, s23, s29
	s_waitcnt lgkmcnt(0)
	s_mul_i32 s23, s34, s23
	s_mul_hi_u32 s29, s34, s22
	s_add_i32 s23, s29, s23
	s_mul_i32 s29, s35, s22
	s_add_i32 s23, s23, s29
	s_mul_i32 s22, s34, s22
	s_add_u32 s36, s22, s36
	s_addc_u32 s33, s23, s33
	s_add_u32 s26, s26, 1
	s_addc_u32 s27, s27, 0
	;; [unrolled: 2-line block ×3, first 2 shown]
	s_add_u32 s8, s8, 8
	v_cmp_ge_u64_e32 vcc, s[26:27], v[2:3]
	s_addc_u32 s9, s9, 0
	s_cbranch_vccnz .LBB0_13
; %bb.11:                               ;   in Loop: Header=BB0_7 Depth=1
	s_mov_b64 s[22:23], s[0:1]
	s_branch .LBB0_7
.LBB0_12:                               ;   in Loop: Header=BB0_7 Depth=1
                                        ; implicit-def: $sgpr0_sgpr1
	s_branch .LBB0_9
.LBB0_13:
	v_mov_b64_e32 v[2:3], s[18:19]
	v_cmp_lt_u64_e32 vcc, s[2:3], v[2:3]
	s_mov_b64 s[22:23], 0
	s_cbranch_vccnz .LBB0_15
; %bb.14:
	v_cvt_f32_u32_e32 v1, s18
	s_sub_i32 s0, 0, s18
	v_rcp_iflag_f32_e32 v1, v1
	s_nop 0
	v_mul_f32_e32 v1, 0x4f7ffffe, v1
	v_cvt_u32_f32_e32 v1, v1
	s_nop 0
	v_readfirstlane_b32 s1, v1
	s_mul_i32 s0, s0, s1
	s_mul_hi_u32 s0, s1, s0
	s_add_i32 s1, s1, s0
	s_mul_hi_u32 s0, s2, s1
	s_mul_i32 s3, s0, s18
	s_sub_i32 s2, s2, s3
	s_add_i32 s1, s0, 1
	s_sub_i32 s3, s2, s18
	s_cmp_ge_u32 s2, s18
	s_cselect_b32 s0, s1, s0
	s_cselect_b32 s2, s3, s2
	s_add_i32 s1, s0, 1
	s_cmp_ge_u32 s2, s18
	s_cselect_b32 s22, s1, s0
.LBB0_15:
	s_lshl_b64 s[0:1], s[6:7], 3
	s_add_u32 s0, s10, s0
	s_addc_u32 s1, s11, s1
	s_load_dwordx2 s[0:1], s[0:1], 0x0
	s_mov_b32 s2, 0x1745d175
	v_mul_hi_u32 v38, v0, s2
	v_mul_u32_u24_e32 v1, 11, v38
	v_sub_u32_e32 v2, v0, v1
	s_waitcnt lgkmcnt(0)
	s_mul_i32 s1, s1, s22
	s_mul_hi_u32 s2, s0, s22
	s_mul_i32 s0, s0, s22
	s_add_i32 s1, s2, s1
	s_add_u32 s2, s0, s36
	s_addc_u32 s3, s1, s33
	s_add_u32 s0, s20, 11
	s_addc_u32 s1, s21, 0
	v_mov_b64_e32 v[4:5], s[4:5]
	v_mov_b32_e32 v10, 0
	v_cmp_le_u64_e32 vcc, s[0:1], v[4:5]
	v_mad_u64_u32 v[6:7], s[0:1], s14, v2, 0
	v_mov_b32_e32 v3, v10
	v_mov_b32_e32 v4, v7
	v_lshl_add_u64 v[8:9], s[20:21], 0, v[2:3]
	v_mad_u64_u32 v[4:5], s[0:1], s15, v2, v[4:5]
	v_cmp_gt_u64_e64 s[0:1], s[4:5], v[8:9]
	v_mov_b32_e32 v7, v4
	s_or_b64 s[46:47], vcc, s[0:1]
	v_mov_b32_e32 v4, 0
	v_mov_b32_e32 v5, 0
	s_and_saveexec_b64 s[0:1], s[46:47]
	s_cbranch_execz .LBB0_17
; %bb.16:
	v_mul_lo_u32 v1, s12, v38
	v_add3_u32 v4, s2, v6, v1
	v_mov_b32_e32 v5, v10
	v_lshl_add_u64 v[4:5], v[4:5], 3, s[16:17]
	global_load_dwordx2 v[4:5], v[4:5], off
.LBB0_17:
	s_or_b64 exec, exec, s[0:1]
	v_mov_b32_e32 v11, 0
	s_and_saveexec_b64 s[0:1], s[46:47]
	s_cbranch_execz .LBB0_19
; %bb.18:
	v_add_u32_e32 v1, 11, v38
	v_mul_lo_u32 v1, s12, v1
	v_add3_u32 v10, s2, v6, v1
	v_mov_b32_e32 v11, 0
	v_lshl_add_u64 v[10:11], v[10:11], 3, s[16:17]
	global_load_dwordx2 v[10:11], v[10:11], off
.LBB0_19:
	s_or_b64 exec, exec, s[0:1]
	v_mov_b32_e32 v20, 0
	v_mov_b32_e32 v22, 0
	v_mov_b32_e32 v23, 0
	s_and_saveexec_b64 s[0:1], s[46:47]
	s_cbranch_execz .LBB0_21
; %bb.20:
	v_add_u32_e32 v1, 22, v38
	v_mul_lo_u32 v1, s12, v1
	v_add3_u32 v12, s2, v6, v1
	v_mov_b32_e32 v13, 0
	v_lshl_add_u64 v[12:13], v[12:13], 3, s[16:17]
	global_load_dwordx2 v[22:23], v[12:13], off
.LBB0_21:
	s_or_b64 exec, exec, s[0:1]
	v_mov_b32_e32 v21, 0
	s_and_saveexec_b64 s[0:1], s[46:47]
	s_cbranch_execz .LBB0_23
; %bb.22:
	v_add_u32_e32 v1, 33, v38
	v_mul_lo_u32 v1, s12, v1
	v_add3_u32 v12, s2, v6, v1
	v_mov_b32_e32 v13, 0
	v_lshl_add_u64 v[12:13], v[12:13], 3, s[16:17]
	global_load_dwordx2 v[20:21], v[12:13], off
.LBB0_23:
	s_or_b64 exec, exec, s[0:1]
	v_mov_b32_e32 v24, 0
	v_mov_b32_e32 v26, 0
	v_mov_b32_e32 v27, 0
	s_and_saveexec_b64 s[0:1], s[46:47]
	s_cbranch_execz .LBB0_25
; %bb.24:
	v_add_u32_e32 v1, 44, v38
	v_mul_lo_u32 v1, s12, v1
	v_add3_u32 v12, s2, v6, v1
	v_mov_b32_e32 v13, 0
	v_lshl_add_u64 v[12:13], v[12:13], 3, s[16:17]
	global_load_dwordx2 v[26:27], v[12:13], off
.LBB0_25:
	;; [unrolled: 26-line block ×4, first 2 shown]
	s_or_b64 exec, exec, s[0:1]
	v_mov_b32_e32 v33, 0
	s_and_saveexec_b64 s[0:1], s[46:47]
	s_cbranch_execz .LBB0_35
; %bb.34:
	v_add_u32_e32 v1, 0x63, v38
	v_mul_lo_u32 v1, s12, v1
	v_add3_u32 v12, s2, v6, v1
	v_mov_b32_e32 v13, 0
	v_lshl_add_u64 v[12:13], v[12:13], 3, s[16:17]
	global_load_dwordx2 v[32:33], v[12:13], off
.LBB0_35:
	s_or_b64 exec, exec, s[0:1]
	v_mov_b32_e32 v36, 0
	v_mov_b32_e32 v37, 0
	s_and_saveexec_b64 s[0:1], s[46:47]
	s_cbranch_execz .LBB0_37
; %bb.36:
	v_add_u32_e32 v1, 0x6e, v38
	v_mul_lo_u32 v1, s12, v1
	v_add3_u32 v12, s2, v6, v1
	v_mov_b32_e32 v13, 0
	v_lshl_add_u64 v[12:13], v[12:13], 3, s[16:17]
	global_load_dwordx2 v[36:37], v[12:13], off
.LBB0_37:
	s_or_b64 exec, exec, s[0:1]
	s_waitcnt vmcnt(0)
	v_pk_add_f32 v[40:41], v[4:5], v[10:11]
	v_pk_add_f32 v[16:17], v[22:23], v[32:33]
	v_pk_add_f32 v[44:45], v[22:23], v[32:33] neg_lo:[0,1] neg_hi:[0,1]
	v_pk_add_f32 v[22:23], v[40:41], v[22:23]
	v_pk_add_f32 v[14:15], v[20:21], v[34:35]
	v_pk_add_f32 v[46:47], v[20:21], v[34:35] neg_lo:[0,1] neg_hi:[0,1]
	v_pk_add_f32 v[20:21], v[22:23], v[20:21]
	v_pk_add_f32 v[18:19], v[10:11], v[36:37]
	;; [unrolled: 1-line block ×3, first 2 shown]
	v_pk_add_f32 v[42:43], v[10:11], v[36:37] neg_lo:[0,1] neg_hi:[0,1]
	v_pk_add_f32 v[20:21], v[20:21], v[24:25]
	s_mov_b32 s8, 0xbf0a6770
	v_pk_add_f32 v[20:21], v[20:21], v[30:31]
	v_mov_b32_e32 v52, v43
	v_pk_add_f32 v[20:21], v[20:21], v[28:29]
	v_mov_b32_e32 v53, v19
	v_pk_add_f32 v[20:21], v[20:21], v[34:35]
	s_mov_b32 s9, 0x3f575c64
	v_pk_add_f32 v[20:21], v[20:21], v[32:33]
	v_mov_b32_e32 v19, v42
	v_pk_add_f32 v[40:41], v[20:21], v[36:37]
	v_pk_mul_f32 v[20:21], v[52:53], s[8:9]
	s_mov_b32 s20, s9
	s_mov_b32 s21, s8
	v_pk_add_f32 v[10:11], v[24:25], v[30:31]
	v_pk_add_f32 v[50:51], v[24:25], v[30:31] neg_lo:[0,1] neg_hi:[0,1]
	v_pk_fma_f32 v[22:23], v[18:19], s[20:21], v[20:21]
	v_pk_fma_f32 v[24:25], v[18:19], s[20:21], v[20:21] neg_lo:[1,0,0] neg_hi:[1,0,0]
	s_mov_b32 s36, 0xbf68dda4
	v_mov_b32_e32 v24, v22
	v_mov_b32_e32 v42, v45
	;; [unrolled: 1-line block ×3, first 2 shown]
	s_mov_b32 s37, 0x3ed4b147
	v_pk_add_f32 v[12:13], v[26:27], v[28:29]
	v_pk_add_f32 v[48:49], v[26:27], v[28:29] neg_lo:[0,1] neg_hi:[0,1]
	s_movk_i32 s0, 0x3c8
	v_pk_add_f32 v[28:29], v[4:5], v[24:25]
	v_pk_mul_f32 v[24:25], v[42:43], s[36:37]
	v_mov_b32_e32 v17, v44
	s_mov_b32 s40, s37
	s_mov_b32 s41, s36
	v_mad_u32_u24 v3, v38, s0, 0
	v_pk_fma_f32 v[26:27], v[16:17], s[40:41], v[24:25]
	v_pk_fma_f32 v[30:31], v[16:17], s[40:41], v[24:25] neg_lo:[1,0,0] neg_hi:[1,0,0]
	s_mov_b32 s0, 0xbf7d64f0
	v_mov_b32_e32 v30, v26
	v_mov_b32_e32 v44, v47
	v_mov_b32_e32 v45, v15
	s_mov_b32 s1, 0xbe11bafb
	v_pk_add_f32 v[32:33], v[30:31], v[28:29]
	v_pk_mul_f32 v[28:29], v[44:45], s[0:1]
	v_mov_b32_e32 v15, v46
	s_mov_b32 s10, s1
	s_mov_b32 s11, s0
	v_pk_fma_f32 v[30:31], v[14:15], s[10:11], v[28:29]
	v_pk_fma_f32 v[34:35], v[14:15], s[10:11], v[28:29] neg_lo:[1,0,0] neg_hi:[1,0,0]
	s_mov_b32 s4, 0xbf4178ce
	v_mov_b32_e32 v34, v30
	v_mov_b32_e32 v46, v49
	v_mov_b32_e32 v47, v13
	s_mov_b32 s5, 0xbf27a4f4
	v_pk_add_f32 v[36:37], v[34:35], v[32:33]
	v_pk_mul_f32 v[32:33], v[46:47], s[4:5]
	v_mov_b32_e32 v13, v48
	s_mov_b32 s14, s5
	s_mov_b32 s15, s4
	;; [unrolled: 12-line block ×3, first 2 shown]
	v_pk_fma_f32 v[50:51], v[10:11], s[18:19], v[36:37]
	v_pk_fma_f32 v[56:57], v[10:11], s[18:19], v[36:37] neg_lo:[1,0,0] neg_hi:[1,0,0]
	v_lshl_add_u32 v1, v2, 3, v3
	v_mov_b32_e32 v56, v50
	v_pk_add_f32 v[48:49], v[56:57], v[48:49]
	ds_write2_b64 v1, v[40:41], v[48:49] offset1:11
	v_pk_mul_f32 v[40:41], v[52:53], s[36:37]
	v_pk_mul_f32 v[58:59], v[42:43], s[4:5]
	v_pk_fma_f32 v[48:49], v[18:19], s[40:41], v[40:41]
	v_pk_fma_f32 v[56:57], v[18:19], s[40:41], v[40:41] neg_lo:[1,0,0] neg_hi:[1,0,0]
	v_pk_fma_f32 v[60:61], v[16:17], s[14:15], v[58:59]
	v_mov_b32_e32 v56, v48
	v_pk_fma_f32 v[62:63], v[16:17], s[14:15], v[58:59] neg_lo:[1,0,0] neg_hi:[1,0,0]
	v_pk_add_f32 v[56:57], v[4:5], v[56:57]
	v_mov_b32_e32 v62, v60
	s_mov_b32 s38, 0x3e903f40
	s_mov_b32 s39, s7
	v_pk_add_f32 v[56:57], v[62:63], v[56:57]
	v_pk_mul_f32 v[62:63], v[44:45], s[38:39]
	s_mov_b32 s42, s7
	s_mov_b32 s43, s38
	v_pk_fma_f32 v[64:65], v[14:15], s[42:43], v[62:63]
	v_pk_fma_f32 v[66:67], v[14:15], s[42:43], v[62:63] neg_lo:[1,0,0] neg_hi:[1,0,0]
	s_mov_b32 s28, 0x3f7d64f0
	v_mov_b32_e32 v66, v64
	s_mov_b32 s29, s1
	v_pk_add_f32 v[56:57], v[66:67], v[56:57]
	s_mov_b32 s34, s1
	s_mov_b32 s35, s28
	v_pk_mul_f32 v[66:67], v[46:47], s[28:29]
	s_mov_b32 s22, 0x3f0a6770
	v_pk_fma_f32 v[68:69], v[12:13], s[34:35], v[66:67]
	v_pk_fma_f32 v[70:71], v[12:13], s[34:35], v[66:67] neg_lo:[1,0,0] neg_hi:[1,0,0]
	s_mov_b32 s23, s9
	v_mov_b32_e32 v70, v68
	v_pk_add_f32 v[56:57], v[70:71], v[56:57]
	s_mov_b32 s26, s9
	s_mov_b32 s27, s22
	v_pk_mul_f32 v[70:71], v[54:55], s[22:23]
	v_pk_mul_f32 v[80:81], v[42:43], s[38:39]
	v_pk_fma_f32 v[72:73], v[10:11], s[26:27], v[70:71]
	v_pk_fma_f32 v[74:75], v[10:11], s[26:27], v[70:71] neg_lo:[1,0,0] neg_hi:[1,0,0]
	v_pk_fma_f32 v[82:83], v[16:17], s[42:43], v[80:81]
	v_mov_b32_e32 v74, v72
	v_pk_add_f32 v[56:57], v[74:75], v[56:57]
	v_pk_mul_f32 v[74:75], v[52:53], s[0:1]
	v_pk_fma_f32 v[84:85], v[16:17], s[42:43], v[80:81] neg_lo:[1,0,0] neg_hi:[1,0,0]
	v_pk_fma_f32 v[76:77], v[18:19], s[10:11], v[74:75]
	v_pk_fma_f32 v[78:79], v[18:19], s[10:11], v[74:75] neg_lo:[1,0,0] neg_hi:[1,0,0]
	v_mov_b32_e32 v84, v82
	v_mov_b32_e32 v78, v76
	v_pk_add_f32 v[78:79], v[4:5], v[78:79]
	s_mov_b32 s24, 0x3f68dda4
	s_mov_b32 s25, s37
	v_pk_add_f32 v[78:79], v[84:85], v[78:79]
	s_mov_b32 s30, s37
	s_mov_b32 s31, s24
	v_pk_mul_f32 v[84:85], v[44:45], s[24:25]
	v_pk_mul_f32 v[98:99], v[42:43], s[28:29]
	v_pk_fma_f32 v[86:87], v[14:15], s[30:31], v[84:85]
	v_pk_fma_f32 v[88:89], v[14:15], s[30:31], v[84:85] neg_lo:[1,0,0] neg_hi:[1,0,0]
	v_pk_fma_f32 v[100:101], v[16:17], s[34:35], v[98:99]
	v_mov_b32_e32 v88, v86
	v_pk_add_f32 v[78:79], v[88:89], v[78:79]
	v_pk_mul_f32 v[88:89], v[46:47], s[8:9]
	v_pk_fma_f32 v[102:103], v[16:17], s[34:35], v[98:99] neg_lo:[1,0,0] neg_hi:[1,0,0]
	v_pk_fma_f32 v[90:91], v[12:13], s[20:21], v[88:89]
	v_pk_fma_f32 v[92:93], v[12:13], s[20:21], v[88:89] neg_lo:[1,0,0] neg_hi:[1,0,0]
	v_mov_b32_e32 v102, v100
	v_mov_b32_e32 v92, v90
	v_pk_add_f32 v[78:79], v[92:93], v[78:79]
	v_pk_mul_f32 v[92:93], v[54:55], s[4:5]
	v_pk_mul_f32 v[42:43], v[42:43], s[22:23]
	v_pk_fma_f32 v[94:95], v[10:11], s[14:15], v[92:93]
	v_pk_fma_f32 v[96:97], v[10:11], s[14:15], v[92:93] neg_lo:[1,0,0] neg_hi:[1,0,0]
	v_pk_fma_f32 v[118:119], v[16:17], s[26:27], v[42:43]
	v_mov_b32_e32 v96, v94
	v_pk_add_f32 v[78:79], v[96:97], v[78:79]
	ds_write2_b64 v1, v[56:57], v[78:79] offset0:22 offset1:33
	v_pk_mul_f32 v[56:57], v[52:53], s[4:5]
	v_pk_mul_f32 v[52:53], v[52:53], s[6:7]
	v_pk_fma_f32 v[78:79], v[18:19], s[14:15], v[56:57]
	v_pk_fma_f32 v[96:97], v[18:19], s[14:15], v[56:57] neg_lo:[1,0,0] neg_hi:[1,0,0]
	v_pk_fma_f32 v[116:117], v[18:19], s[18:19], v[52:53] neg_lo:[1,0,0] neg_hi:[1,0,0]
	v_mov_b32_e32 v96, v78
	v_pk_add_f32 v[96:97], v[4:5], v[96:97]
	v_pk_fma_f32 v[120:121], v[16:17], s[26:27], v[42:43] neg_lo:[1,0,0] neg_hi:[1,0,0]
	v_pk_add_f32 v[96:97], v[102:103], v[96:97]
	v_pk_mul_f32 v[102:103], v[44:45], s[8:9]
	v_mov_b32_e32 v120, v118
	v_pk_fma_f32 v[104:105], v[14:15], s[20:21], v[102:103]
	v_pk_fma_f32 v[106:107], v[14:15], s[20:21], v[102:103] neg_lo:[1,0,0] neg_hi:[1,0,0]
	v_pk_mul_f32 v[44:45], v[44:45], s[4:5]
	v_mov_b32_e32 v106, v104
	v_pk_add_f32 v[96:97], v[106:107], v[96:97]
	v_pk_mul_f32 v[106:107], v[46:47], s[6:7]
	v_pk_fma_f32 v[42:43], v[16:17], s[26:27], v[42:43] neg_lo:[0,0,1] neg_hi:[0,0,1]
	v_pk_fma_f32 v[108:109], v[12:13], s[18:19], v[106:107]
	v_pk_fma_f32 v[110:111], v[12:13], s[18:19], v[106:107] neg_lo:[1,0,0] neg_hi:[1,0,0]
	v_pk_fma_f32 v[122:123], v[14:15], s[14:15], v[44:45] neg_lo:[1,0,0] neg_hi:[1,0,0]
	v_mov_b32_e32 v110, v108
	v_pk_add_f32 v[96:97], v[110:111], v[96:97]
	v_pk_mul_f32 v[110:111], v[54:55], s[24:25]
	v_mov_b32_e32 v43, v119
	v_pk_fma_f32 v[112:113], v[10:11], s[30:31], v[110:111]
	v_pk_fma_f32 v[114:115], v[10:11], s[30:31], v[110:111] neg_lo:[1,0,0] neg_hi:[1,0,0]
	v_pk_mul_f32 v[46:47], v[46:47], s[24:25]
	v_mov_b32_e32 v114, v112
	v_pk_add_f32 v[96:97], v[114:115], v[96:97]
	v_pk_fma_f32 v[114:115], v[18:19], s[18:19], v[52:53]
	v_pk_fma_f32 v[52:53], v[18:19], s[18:19], v[52:53] neg_lo:[0,0,1] neg_hi:[0,0,1]
	v_mov_b32_e32 v116, v114
	v_pk_add_f32 v[116:117], v[4:5], v[116:117]
	v_mov_b32_e32 v53, v115
	v_pk_add_f32 v[116:117], v[120:121], v[116:117]
	v_pk_fma_f32 v[120:121], v[14:15], s[14:15], v[44:45]
	v_pk_add_f32 v[52:53], v[4:5], v[52:53]
	v_pk_fma_f32 v[44:45], v[14:15], s[14:15], v[44:45] neg_lo:[0,0,1] neg_hi:[0,0,1]
	v_mov_b32_e32 v122, v120
	v_pk_add_f32 v[42:43], v[42:43], v[52:53]
	v_mov_b32_e32 v45, v121
	v_pk_add_f32 v[116:117], v[122:123], v[116:117]
	v_pk_fma_f32 v[122:123], v[12:13], s[30:31], v[46:47]
	v_pk_fma_f32 v[124:125], v[12:13], s[30:31], v[46:47] neg_lo:[1,0,0] neg_hi:[1,0,0]
	v_pk_add_f32 v[42:43], v[44:45], v[42:43]
	v_pk_fma_f32 v[44:45], v[12:13], s[30:31], v[46:47] neg_lo:[0,0,1] neg_hi:[0,0,1]
	v_mov_b32_e32 v124, v122
	v_pk_mul_f32 v[54:55], v[54:55], s[0:1]
	v_mov_b32_e32 v45, v123
	v_pk_add_f32 v[116:117], v[124:125], v[116:117]
	v_pk_fma_f32 v[124:125], v[10:11], s[10:11], v[54:55]
	v_pk_add_f32 v[42:43], v[44:45], v[42:43]
	v_pk_fma_f32 v[44:45], v[10:11], s[10:11], v[54:55] neg_lo:[0,0,1] neg_hi:[0,0,1]
	v_pk_fma_f32 v[46:47], v[16:17], s[34:35], v[98:99] neg_lo:[0,0,1] neg_hi:[0,0,1]
	v_mov_b32_e32 v45, v125
	v_pk_add_f32 v[42:43], v[44:45], v[42:43]
	v_pk_fma_f32 v[44:45], v[18:19], s[14:15], v[56:57] neg_lo:[0,0,1] neg_hi:[0,0,1]
	v_mov_b32_e32 v47, v101
	v_mov_b32_e32 v45, v79
	v_pk_add_f32 v[44:45], v[4:5], v[44:45]
	v_pk_fma_f32 v[40:41], v[18:19], s[40:41], v[40:41] neg_lo:[0,0,1] neg_hi:[0,0,1]
	v_pk_add_f32 v[44:45], v[46:47], v[44:45]
	v_pk_fma_f32 v[46:47], v[14:15], s[20:21], v[102:103] neg_lo:[0,0,1] neg_hi:[0,0,1]
	v_mov_b32_e32 v41, v49
	v_mov_b32_e32 v47, v105
	v_pk_add_f32 v[44:45], v[46:47], v[44:45]
	v_pk_fma_f32 v[46:47], v[12:13], s[18:19], v[106:107] neg_lo:[0,0,1] neg_hi:[0,0,1]
	v_pk_add_f32 v[40:41], v[4:5], v[40:41]
	v_mov_b32_e32 v47, v109
	v_pk_add_f32 v[44:45], v[46:47], v[44:45]
	v_pk_fma_f32 v[46:47], v[10:11], s[30:31], v[110:111] neg_lo:[0,0,1] neg_hi:[0,0,1]
	v_pk_fma_f32 v[126:127], v[10:11], s[10:11], v[54:55] neg_lo:[1,0,0] neg_hi:[1,0,0]
	v_mov_b32_e32 v47, v113
	v_pk_add_f32 v[44:45], v[46:47], v[44:45]
	ds_write2_b64 v1, v[42:43], v[44:45] offset0:66 offset1:77
	v_pk_fma_f32 v[42:43], v[18:19], s[10:11], v[74:75] neg_lo:[0,0,1] neg_hi:[0,0,1]
	v_pk_fma_f32 v[44:45], v[16:17], s[42:43], v[80:81] neg_lo:[0,0,1] neg_hi:[0,0,1]
	v_mov_b32_e32 v43, v77
	v_mov_b32_e32 v45, v83
	v_pk_add_f32 v[42:43], v[4:5], v[42:43]
	v_pk_fma_f32 v[18:19], v[18:19], s[20:21], v[20:21] neg_lo:[0,0,1] neg_hi:[0,0,1]
	v_pk_add_f32 v[42:43], v[44:45], v[42:43]
	v_pk_fma_f32 v[44:45], v[14:15], s[30:31], v[84:85] neg_lo:[0,0,1] neg_hi:[0,0,1]
	v_mov_b32_e32 v19, v23
	v_mov_b32_e32 v45, v87
	v_pk_add_f32 v[42:43], v[44:45], v[42:43]
	v_pk_fma_f32 v[44:45], v[12:13], s[20:21], v[88:89] neg_lo:[0,0,1] neg_hi:[0,0,1]
	v_pk_add_f32 v[4:5], v[4:5], v[18:19]
	v_mov_b32_e32 v45, v91
	v_pk_add_f32 v[42:43], v[44:45], v[42:43]
	v_pk_fma_f32 v[44:45], v[10:11], s[14:15], v[92:93] neg_lo:[0,0,1] neg_hi:[0,0,1]
	v_mov_b32_e32 v126, v124
	v_mov_b32_e32 v45, v95
	v_pk_add_f32 v[42:43], v[44:45], v[42:43]
	v_pk_fma_f32 v[44:45], v[16:17], s[14:15], v[58:59] neg_lo:[0,0,1] neg_hi:[0,0,1]
	v_pk_fma_f32 v[16:17], v[16:17], s[40:41], v[24:25] neg_lo:[0,0,1] neg_hi:[0,0,1]
	v_mov_b32_e32 v45, v61
	v_pk_add_f32 v[40:41], v[44:45], v[40:41]
	v_pk_fma_f32 v[44:45], v[14:15], s[42:43], v[62:63] neg_lo:[0,0,1] neg_hi:[0,0,1]
	v_mov_b32_e32 v17, v27
	v_mov_b32_e32 v45, v65
	v_pk_add_f32 v[40:41], v[44:45], v[40:41]
	v_pk_fma_f32 v[44:45], v[12:13], s[34:35], v[66:67] neg_lo:[0,0,1] neg_hi:[0,0,1]
	v_pk_fma_f32 v[14:15], v[14:15], s[10:11], v[28:29] neg_lo:[0,0,1] neg_hi:[0,0,1]
	v_mov_b32_e32 v45, v69
	v_pk_add_f32 v[4:5], v[16:17], v[4:5]
	v_mov_b32_e32 v15, v31
	v_pk_fma_f32 v[12:13], v[12:13], s[14:15], v[32:33] neg_lo:[0,0,1] neg_hi:[0,0,1]
	v_pk_add_f32 v[40:41], v[44:45], v[40:41]
	v_pk_fma_f32 v[44:45], v[10:11], s[26:27], v[70:71] neg_lo:[0,0,1] neg_hi:[0,0,1]
	v_pk_add_f32 v[4:5], v[14:15], v[4:5]
	v_mov_b32_e32 v13, v35
	v_pk_fma_f32 v[10:11], v[10:11], s[18:19], v[36:37] neg_lo:[0,0,1] neg_hi:[0,0,1]
	v_mov_b32_e32 v45, v73
	v_pk_add_f32 v[4:5], v[12:13], v[4:5]
	v_mov_b32_e32 v11, v51
	v_pk_add_f32 v[116:117], v[126:127], v[116:117]
	v_pk_add_f32 v[40:41], v[44:45], v[40:41]
	;; [unrolled: 1-line block ×3, first 2 shown]
	ds_write2_b64 v1, v[96:97], v[116:117] offset0:44 offset1:55
	ds_write2_b64 v1, v[42:43], v[40:41] offset0:88 offset1:99
	ds_write_b64 v1, v[4:5] offset:880
	s_waitcnt lgkmcnt(0)
	s_barrier
	s_and_saveexec_b64 s[48:49], s[46:47]
	s_cbranch_execz .LBB0_39
; %bb.38:
	s_mov_b32 s33, 0x1745d175
	v_mul_hi_u32 v1, v38, s33
	v_mul_u32_u24_e32 v1, 11, v1
	v_sub_u32_e32 v1, v38, v1
	v_mul_u32_u24_e32 v4, 10, v1
	v_lshlrev_b32_e32 v4, 3, v4
	global_load_dwordx4 v[22:25], v4, s[44:45] offset:32
	global_load_dwordx4 v[26:29], v4, s[44:45] offset:16
	;; [unrolled: 1-line block ×3, first 2 shown]
	global_load_dwordx4 v[40:43], v4, s[44:45]
	global_load_dwordx4 v[44:47], v4, s[44:45] offset:64
	v_add_u32_e32 v14, 0x6e, v1
	v_mul_lo_u32 v71, v14, v8
	v_mul_i32_i24_e32 v4, 0xfffffc90, v38
	v_lshlrev_b32_e32 v2, 3, v2
	v_lshrrev_b32_e32 v14, 9, v71
	v_lshrrev_b32_e32 v16, 3, v71
	s_add_i32 s33, 0, 0x2998
	v_add3_u32 v9, v3, v4, v2
	v_and_b32_e32 v15, 63, v71
	v_and_b32_e32 v14, 0x1f8, v14
	;; [unrolled: 1-line block ×3, first 2 shown]
	v_add_u32_e32 v10, 0xc00, v9
	v_add_u32_e32 v11, 0x1400, v9
	;; [unrolled: 1-line block ×4, first 2 shown]
	ds_read2_b64 v[2:5], v9 offset1:121
	v_lshl_add_u32 v15, v15, 3, 0
	v_add_u32_e32 v14, s33, v14
	v_add_u32_e32 v16, s33, v16
	ds_read_b64 v[60:61], v9 offset:9680
	ds_read_b64 v[64:65], v14 offset:1024
	;; [unrolled: 1-line block ×4, first 2 shown]
	ds_read2_b64 v[34:37], v10 offset0:100 offset1:221
	ds_read2_b64 v[48:51], v11 offset0:86 offset1:207
	;; [unrolled: 1-line block ×4, first 2 shown]
	s_waitcnt lgkmcnt(4)
	v_mul_f32_e32 v9, v62, v66
	v_fma_f32 v9, -v63, v67, v9
	s_lshl_b64 s[2:3], s[2:3], 3
	s_add_u32 s2, s16, s2
	s_addc_u32 s3, s17, s3
	v_lshl_add_u64 v[156:157], v[6:7], 3, s[2:3]
	s_waitcnt vmcnt(4) lgkmcnt(3)
	v_mul_f32_e32 v10, v37, v23
	v_mul_f32_e32 v11, v23, v36
	v_mov_b32_e32 v38, v25
	s_waitcnt lgkmcnt(2)
	v_pk_mul_f32 v[12:13], v[48:49], v[24:25] op_sel:[1,0] op_sel_hi:[0,1]
	s_waitcnt vmcnt(2)
	v_pk_mul_f32 v[14:15], v[50:51], v[30:31] op_sel:[1,0] op_sel_hi:[0,1]
	s_waitcnt lgkmcnt(0)
	v_pk_mul_f32 v[16:17], v[56:57], v[32:33] op_sel:[1,0] op_sel_hi:[0,1]
	s_waitcnt vmcnt(0)
	v_pk_mul_f32 v[18:19], v[58:59], v[44:45] op_sel:[1,0] op_sel_hi:[0,1]
	v_mul_f32_e32 v39, v41, v4
	v_pk_mul_f32 v[20:21], v[60:61], v[46:47] op_sel:[1,0] op_sel_hi:[0,1]
	v_mul_f32_e32 v12, v29, v35
	v_mul_f32_e32 v23, v29, v34
	v_mov_b32_e32 v68, v31
	v_mul_f32_e32 v14, v27, v55
	v_mul_f32_e32 v27, v27, v54
	v_mov_b32_e32 v70, v33
	;; [unrolled: 3-line block ×3, first 2 shown]
	v_mul_f32_e32 v18, v41, v5
	v_fmac_f32_e32 v10, v22, v36
	v_fma_f32 v20, v37, v22, -v11
	v_pk_mul_f32 v[36:37], v[48:49], v[38:39] op_sel:[1,0] op_sel_hi:[0,1]
	v_mov_b32_e32 v38, v13
	v_fmac_f32_e32 v12, v28, v34
	v_fma_f32 v22, v28, v35, -v23
	v_pk_mul_f32 v[68:69], v[50:51], v[68:69] op_sel:[1,0] op_sel_hi:[0,1]
	v_mov_b32_e32 v76, v15
	v_fmac_f32_e32 v14, v26, v54
	v_fma_f32 v28, v26, v55, -v27
	v_pk_mul_f32 v[26:27], v[56:57], v[70:71] op_sel:[1,0] op_sel_hi:[0,1]
	v_fmac_f32_e32 v16, v42, v52
	v_fma_f32 v34, v42, v53, -v29
	v_pk_mul_f32 v[52:53], v[58:59], v[72:73] op_sel:[1,0] op_sel_hi:[0,1]
	v_mov_b32_e32 v70, v19
	v_fmac_f32_e32 v18, v40, v4
	v_fma_f32 v40, v40, v5, -v39
	v_pk_fma_f32 v[4:5], v[48:49], v[24:25], v[36:37]
	v_pk_fma_f32 v[36:37], v[48:49], v[24:25], v[38:39] op_sel:[1,0,0] op_sel_hi:[0,1,1] neg_lo:[0,0,1] neg_hi:[0,0,1]
	v_pk_mul_f32 v[48:49], v[62:63], v[66:67] op_sel:[1,0] op_sel_hi:[0,1]
	v_pk_fma_f32 v[24:25], v[50:51], v[30:31], v[68:69]
	v_pk_fma_f32 v[38:39], v[50:51], v[30:31], v[76:77] op_sel:[1,0,0] op_sel_hi:[0,1,1] neg_lo:[0,0,1] neg_hi:[0,0,1]
	v_pk_fma_f32 v[30:31], v[58:59], v[44:45], v[52:53]
	v_pk_fma_f32 v[44:45], v[58:59], v[44:45], v[70:71] op_sel:[1,0,0] op_sel_hi:[0,1,1] neg_lo:[0,0,1] neg_hi:[0,0,1]
	v_add_f32_e32 v11, v48, v49
	v_mul_f32_e32 v58, v9, v65
	v_mul_f32_e32 v13, v11, v65
	v_fmac_f32_e32 v58, v64, v11
	v_mul_lo_u32 v11, v8, -11
	v_fma_f32 v62, v64, v9, -v13
	v_add_u32_e32 v9, v71, v11
	v_lshrrev_b32_e32 v13, 9, v9
	v_and_b32_e32 v13, 0x1f8, v13
	v_add_u32_e32 v15, s33, v13
	v_and_b32_e32 v13, 63, v9
	v_mov_b32_e32 v54, v17
	v_lshl_add_u32 v17, v13, 3, 0
	v_lshrrev_b32_e32 v13, 3, v9
	v_and_b32_e32 v13, 0x1f8, v13
	v_add_u32_e32 v19, s33, v13
	ds_read_b64 v[48:49], v15 offset:1024
	ds_read_b64 v[50:51], v17 offset:10648
	;; [unrolled: 1-line block ×3, first 2 shown]
	v_add_u32_e32 v13, v9, v11
	v_lshrrev_b32_e32 v9, 9, v13
	v_and_b32_e32 v9, 0x1f8, v9
	v_mov_b32_e32 v74, v47
	v_add_u32_e32 v9, s33, v9
	v_pk_mul_f32 v[72:73], v[60:61], v[74:75] op_sel:[1,0] op_sel_hi:[0,1]
	v_mov_b32_e32 v74, v21
	ds_read_b64 v[84:85], v9 offset:1024
	s_waitcnt lgkmcnt(1)
	v_mul_f32_e32 v9, v50, v52
	v_mul_lo_u32 v21, v1, v8
	v_fma_f32 v15, -v51, v53, v9
	v_and_b32_e32 v8, 63, v21
	v_lshrrev_b32_e32 v9, 3, v21
	v_pk_mul_f32 v[50:51], v[50:51], v[52:53] op_sel:[1,0] op_sel_hi:[0,1]
	v_lshl_add_u32 v8, v8, 3, 0
	v_and_b32_e32 v9, 0x1f8, v9
	v_add_f32_e32 v17, v50, v51
	v_add_u32_e32 v23, s33, v9
	ds_read_b64 v[8:9], v8 offset:10648
	ds_read_b64 v[50:51], v23 offset:512
	v_mul_f32_e32 v19, v17, v49
	v_mul_f32_e32 v82, v15, v49
	v_fma_f32 v80, v48, v15, -v19
	v_fmac_f32_e32 v82, v48, v17
	s_waitcnt lgkmcnt(0)
	v_mul_f32_e32 v17, v9, v51
	v_mul_f32_e32 v19, v8, v51
	v_fma_f32 v17, v8, v50, -v17
	v_fmac_f32_e32 v19, v9, v50
	v_pk_add_f32 v[8:9], v[10:11], v[4:5] neg_lo:[0,1] neg_hi:[0,1]
	v_pk_add_f32 v[48:49], v[20:21], v[36:37]
	v_pk_fma_f32 v[26:27], v[56:57], v[32:33], v[26:27]
	v_pk_fma_f32 v[42:43], v[56:57], v[32:33], v[54:55] op_sel:[1,0,0] op_sel_hi:[0,1,1] neg_lo:[0,0,1] neg_hi:[0,0,1]
	v_add_u32_e32 v15, v13, v11
	v_mov_b32_e32 v9, v48
	v_pk_add_f32 v[48:49], v[12:13], v[24:25] neg_lo:[0,1] neg_hi:[0,1]
	v_pk_add_f32 v[50:51], v[22:23], v[38:39]
	v_pk_add_f32 v[56:57], v[28:29], v[42:43]
	v_mov_b32_e32 v49, v50
	v_pk_add_f32 v[50:51], v[14:15], v[26:27] neg_lo:[0,1] neg_hi:[0,1]
	v_pk_fma_f32 v[32:33], v[60:61], v[46:47], v[72:73]
	v_mov_b32_e32 v51, v56
	v_pk_add_f32 v[56:57], v[16:17], v[30:31] neg_lo:[0,1] neg_hi:[0,1]
	v_pk_add_f32 v[66:67], v[34:35], v[44:45]
	v_pk_fma_f32 v[46:47], v[60:61], v[46:47], v[74:75] op_sel:[1,0,0] op_sel_hi:[0,1,1] neg_lo:[0,0,1] neg_hi:[0,0,1]
	v_mov_b32_e32 v57, v66
	v_pk_add_f32 v[76:77], v[18:19], v[32:33]
	v_pk_add_f32 v[66:67], v[18:19], v[32:33] neg_lo:[0,1] neg_hi:[0,1]
	v_pk_add_f32 v[72:73], v[16:17], v[30:31]
	v_mov_b32_e32 v77, v66
	v_pk_add_f32 v[78:79], v[40:41], v[46:47] neg_lo:[0,1] neg_hi:[0,1]
	v_pk_add_f32 v[102:103], v[40:41], v[46:47]
	v_mov_b32_e32 v73, v56
	v_pk_add_f32 v[74:75], v[34:35], v[44:45] neg_lo:[0,1] neg_hi:[0,1]
	v_pk_mul_f32 v[100:101], v[76:77], s[20:21]
	v_mov_b32_e32 v66, v78
	v_mov_b32_e32 v67, v102
	v_pk_add_f32 v[68:69], v[14:15], v[26:27]
	v_pk_mul_f32 v[96:97], v[72:73], s[40:41]
	v_mov_b32_e32 v56, v74
	v_pk_fma_f32 v[108:109], v[78:79], s[8:9], v[100:101] neg_lo:[1,0,0] neg_hi:[1,0,0]
	v_pk_fma_f32 v[102:103], v[66:67], s[8:9], v[100:101]
	v_mov_b32_e32 v69, v50
	v_pk_add_f32 v[70:71], v[28:29], v[42:43] neg_lo:[0,1] neg_hi:[0,1]
	v_pk_fma_f32 v[104:105], v[74:75], s[36:37], v[96:97] neg_lo:[1,0,0] neg_hi:[1,0,0]
	v_pk_fma_f32 v[98:99], v[56:57], s[36:37], v[96:97]
	v_mov_b32_e32 v109, v103
	v_pk_add_f32 v[60:61], v[12:13], v[24:25]
	v_pk_mul_f32 v[94:95], v[68:69], s[10:11]
	v_mov_b32_e32 v50, v70
	v_mov_b32_e32 v105, v99
	v_pk_add_f32 v[108:109], v[108:109], v[2:3]
	v_mov_b32_e32 v61, v48
	v_pk_add_f32 v[64:65], v[22:23], v[38:39] neg_lo:[0,1] neg_hi:[0,1]
	v_pk_fma_f32 v[106:107], v[70:71], s[0:1], v[94:95] neg_lo:[1,0,0] neg_hi:[1,0,0]
	v_pk_add_f32 v[108:109], v[104:105], v[108:109]
	v_pk_fma_f32 v[104:105], v[50:51], s[0:1], v[94:95]
	v_pk_add_f32 v[52:53], v[10:11], v[4:5]
	v_pk_mul_f32 v[88:89], v[60:61], s[14:15]
	v_mov_b32_e32 v48, v64
	v_mov_b32_e32 v107, v105
	;; [unrolled: 1-line block ×3, first 2 shown]
	v_pk_add_f32 v[54:55], v[20:21], v[36:37] neg_lo:[0,1] neg_hi:[0,1]
	v_pk_fma_f32 v[92:93], v[64:65], s[4:5], v[88:89] neg_lo:[1,0,0] neg_hi:[1,0,0]
	v_pk_add_f32 v[108:109], v[106:107], v[108:109]
	v_pk_fma_f32 v[106:107], v[48:49], s[4:5], v[88:89]
	v_pk_mul_f32 v[86:87], v[52:53], s[18:19]
	v_mov_b32_e32 v8, v54
	v_mov_b32_e32 v93, v107
	v_pk_fma_f32 v[90:91], v[54:55], s[6:7], v[86:87] neg_lo:[1,0,0] neg_hi:[1,0,0]
	v_pk_add_f32 v[92:93], v[92:93], v[108:109]
	v_pk_fma_f32 v[108:109], v[8:9], s[6:7], v[86:87]
	v_lshrrev_b32_e32 v5, 9, v21
	v_add_u32_e32 v21, v15, v11
	v_mov_b32_e32 v91, v109
	v_add_u32_e32 v23, v21, v11
	v_pk_add_f32 v[90:91], v[90:91], v[92:93]
	v_and_b32_e32 v5, 0x1f8, v5
	v_add_u32_e32 v25, v23, v11
	v_pk_mul_f32 v[92:93], v[90:91], v[58:59] op_sel_hi:[1,0]
	v_add_u32_e32 v5, s33, v5
	v_add_u32_e32 v27, v25, v11
	v_pk_fma_f32 v[58:59], v[90:91], v[62:63], v[92:93] op_sel:[0,0,1] op_sel_hi:[1,1,0]
	v_pk_fma_f32 v[62:63], v[90:91], v[62:63], v[92:93] op_sel:[0,0,1] op_sel_hi:[1,0,0] neg_lo:[0,0,1] neg_hi:[0,0,1]
	v_add_u32_e32 v29, v27, v11
	ds_read_b64 v[90:91], v5 offset:1024
	v_add_u32_e32 v11, v29, v11
	v_lshrrev_b32_e32 v5, 3, v11
	v_and_b32_e32 v5, 0x1f8, v5
	v_add_u32_e32 v5, s33, v5
	ds_read_b64 v[122:123], v5 offset:512
	s_waitcnt lgkmcnt(1)
	v_mul_f32_e32 v5, v19, v91
	v_fma_f32 v31, v90, v17, -v5
	v_mul_f32_e32 v17, v17, v91
	v_fmac_f32_e32 v17, v90, v19
	v_and_b32_e32 v5, 63, v13
	v_lshrrev_b32_e32 v13, 3, v13
	v_lshrrev_b32_e32 v19, 9, v15
	v_lshl_add_u32 v5, v5, 3, 0
	v_and_b32_e32 v13, 0x1f8, v13
	v_and_b32_e32 v19, 0x1f8, v19
	;; [unrolled: 1-line block ×3, first 2 shown]
	v_add_u32_e32 v13, s33, v13
	v_add_u32_e32 v19, s33, v19
	v_lshl_add_u32 v33, v33, 3, 0
	ds_read_b64 v[90:91], v5 offset:10648
	ds_read_b64 v[92:93], v13 offset:512
	;; [unrolled: 1-line block ×4, first 2 shown]
	v_lshrrev_b32_e32 v19, 3, v21
	v_and_b32_e32 v19, 0x1f8, v19
	s_waitcnt lgkmcnt(2)
	v_mul_f32_e32 v5, v90, v92
	v_fma_f32 v5, -v91, v93, v5
	v_pk_mul_f32 v[90:91], v[90:91], v[92:93] op_sel:[1,0] op_sel_hi:[0,1]
	v_add_f32_e32 v13, v90, v91
	v_mul_f32_e32 v118, v5, v85
	v_fmac_f32_e32 v118, v84, v13
	v_mul_f32_e32 v13, v13, v85
	v_fma_f32 v120, v84, v5, -v13
	v_lshrrev_b32_e32 v5, 3, v15
	v_and_b32_e32 v5, 0x1f8, v5
	v_lshrrev_b32_e32 v13, 9, v21
	v_add_u32_e32 v5, s33, v5
	v_and_b32_e32 v13, 0x1f8, v13
	v_and_b32_e32 v15, 63, v21
	v_add_u32_e32 v13, s33, v13
	v_lshl_add_u32 v15, v15, 3, 0
	v_add_u32_e32 v19, s33, v19
	ds_read_b64 v[84:85], v5 offset:512
	ds_read_b64 v[92:93], v13 offset:1024
	;; [unrolled: 1-line block ×4, first 2 shown]
	v_lshrrev_b32_e32 v15, 9, v25
	s_waitcnt lgkmcnt(3)
	v_mul_f32_e32 v5, v110, v84
	v_fma_f32 v5, -v111, v85, v5
	v_pk_mul_f32 v[84:85], v[110:111], v[84:85] op_sel:[1,0] op_sel_hi:[0,1]
	v_add_f32_e32 v13, v84, v85
	v_mul_f32_e32 v110, v5, v113
	v_fmac_f32_e32 v110, v112, v13
	v_mul_f32_e32 v13, v13, v113
	v_fma_f32 v112, v112, v5, -v13
	s_waitcnt lgkmcnt(0)
	v_mul_f32_e32 v5, v90, v114
	v_fma_f32 v5, -v91, v115, v5
	v_pk_mul_f32 v[84:85], v[90:91], v[114:115] op_sel:[1,0] op_sel_hi:[0,1]
	v_add_f32_e32 v13, v84, v85
	v_mul_f32_e32 v90, v5, v93
	v_fmac_f32_e32 v90, v92, v13
	v_mul_f32_e32 v13, v13, v93
	v_fma_f32 v92, v92, v5, -v13
	v_and_b32_e32 v5, 63, v23
	v_lshrrev_b32_e32 v13, 3, v23
	v_lshrrev_b32_e32 v19, 9, v23
	v_lshl_add_u32 v5, v5, 3, 0
	v_and_b32_e32 v13, 0x1f8, v13
	v_and_b32_e32 v15, 0x1f8, v15
	;; [unrolled: 1-line block ×3, first 2 shown]
	v_add_u32_e32 v13, s33, v13
	v_add_u32_e32 v15, s33, v15
	;; [unrolled: 1-line block ×3, first 2 shown]
	ds_read_b64 v[84:85], v5 offset:10648
	ds_read_b64 v[114:115], v13 offset:512
	;; [unrolled: 1-line block ×4, first 2 shown]
	v_lshrrev_b32_e32 v15, 9, v27
	v_and_b32_e32 v15, 0x1f8, v15
	s_waitcnt lgkmcnt(2)
	v_mul_f32_e32 v5, v84, v114
	v_fma_f32 v5, -v85, v115, v5
	v_pk_mul_f32 v[84:85], v[84:85], v[114:115] op_sel:[1,0] op_sel_hi:[0,1]
	v_add_f32_e32 v13, v84, v85
	s_waitcnt lgkmcnt(0)
	v_mul_f32_e32 v62, v5, v125
	v_fmac_f32_e32 v62, v124, v13
	v_mul_f32_e32 v13, v13, v125
	v_fma_f32 v84, v124, v5, -v13
	v_and_b32_e32 v5, 63, v25
	v_lshrrev_b32_e32 v13, 3, v25
	v_lshl_add_u32 v5, v5, 3, 0
	v_and_b32_e32 v13, 0x1f8, v13
	v_and_b32_e32 v19, 63, v27
	v_add_u32_e32 v13, s33, v13
	v_add_u32_e32 v15, s33, v15
	v_lshl_add_u32 v19, v19, 3, 0
	ds_read_b64 v[114:115], v5 offset:10648
	ds_read_b64 v[124:125], v13 offset:512
	;; [unrolled: 1-line block ×4, first 2 shown]
	v_lshrrev_b32_e32 v19, 3, v29
	v_and_b32_e32 v15, 63, v29
	s_waitcnt lgkmcnt(2)
	v_mul_f32_e32 v5, v114, v124
	v_fma_f32 v5, -v115, v125, v5
	v_pk_mul_f32 v[114:115], v[114:115], v[124:125] op_sel:[1,0] op_sel_hi:[0,1]
	v_add_f32_e32 v13, v114, v115
	v_mul_f32_e32 v114, v5, v117
	v_fmac_f32_e32 v114, v116, v13
	v_mul_f32_e32 v13, v13, v117
	v_fma_f32 v116, v116, v5, -v13
	v_lshrrev_b32_e32 v5, 3, v27
	v_and_b32_e32 v5, 0x1f8, v5
	v_lshrrev_b32_e32 v13, 9, v29
	v_add_u32_e32 v5, s33, v5
	v_and_b32_e32 v13, 0x1f8, v13
	v_and_b32_e32 v19, 0x1f8, v19
	v_add_u32_e32 v13, s33, v13
	v_lshl_add_u32 v15, v15, 3, 0
	v_add_u32_e32 v19, s33, v19
	ds_read_b64 v[124:125], v5 offset:512
	ds_read_b64 v[134:135], v13 offset:1024
	;; [unrolled: 1-line block ×4, first 2 shown]
	v_mov_b32_e32 v59, v63
	s_waitcnt lgkmcnt(3)
	v_mul_f32_e32 v5, v128, v124
	v_fma_f32 v5, -v129, v125, v5
	v_pk_mul_f32 v[124:125], v[128:129], v[124:125] op_sel:[1,0] op_sel_hi:[0,1]
	v_add_f32_e32 v13, v124, v125
	v_mul_f32_e32 v130, v5, v127
	v_fmac_f32_e32 v130, v126, v13
	v_mul_f32_e32 v13, v13, v127
	v_fma_f32 v132, v126, v5, -v13
	s_waitcnt lgkmcnt(0)
	v_mul_f32_e32 v5, v136, v138
	v_fma_f32 v5, -v137, v139, v5
	v_pk_mul_f32 v[124:125], v[136:137], v[138:139] op_sel:[1,0] op_sel_hi:[0,1]
	v_add_f32_e32 v13, v124, v125
	v_mul_f32_e32 v136, v5, v135
	v_fmac_f32_e32 v136, v134, v13
	v_mul_f32_e32 v13, v13, v135
	v_fma_f32 v138, v134, v5, -v13
	v_and_b32_e32 v5, 63, v11
	v_lshrrev_b32_e32 v11, 9, v11
	v_lshl_add_u32 v5, v5, 3, 0
	v_and_b32_e32 v11, 0x1f8, v11
	v_add_u32_e32 v11, s33, v11
	ds_read_b64 v[124:125], v5 offset:10648
	ds_read_b64 v[126:127], v11 offset:1024
	s_mov_b32 s33, 0x21d9eae
	v_mul_hi_u32 v0, v0, s33
	s_movk_i32 s33, 0x79
	s_waitcnt lgkmcnt(1)
	v_mul_f32_e32 v5, v124, v122
	v_fma_f32 v5, -v125, v123, v5
	v_pk_mul_f32 v[122:123], v[124:125], v[122:123] op_sel:[1,0] op_sel_hi:[0,1]
	v_add_f32_e32 v11, v122, v123
	s_waitcnt lgkmcnt(0)
	v_mul_f32_e32 v140, v5, v127
	v_fmac_f32_e32 v140, v126, v11
	v_mul_f32_e32 v11, v11, v127
	v_fma_f32 v142, v126, v5, -v11
	v_mad_u32_u24 v5, v0, s33, v1
	v_mad_u64_u32 v[0:1], s[44:45], s12, v5, 0
	v_mov_b32_e32 v122, v1
	v_mad_u64_u32 v[122:123], s[44:45], s13, v5, v[122:123]
	v_add_u32_e32 v11, 11, v5
	v_mov_b32_e32 v1, v122
	v_mad_u64_u32 v[122:123], s[44:45], s12, v11, 0
	v_mov_b32_e32 v124, v123
	v_mad_u64_u32 v[124:125], s[44:45], s13, v11, v[124:125]
	v_add_u32_e32 v11, 22, v5
	v_mov_b32_e32 v123, v124
	;; [unrolled: 5-line block ×4, first 2 shown]
	v_mad_u64_u32 v[128:129], s[44:45], s12, v11, 0
	v_mov_b32_e32 v134, v129
	v_mad_u64_u32 v[134:135], s[44:45], s13, v11, v[134:135]
	v_add_u32_e32 v11, 55, v5
	v_mad_u64_u32 v[144:145], s[44:45], s12, v11, 0
	v_mov_b32_e32 v129, v134
	v_mov_b32_e32 v134, v145
	v_mad_u64_u32 v[134:135], s[44:45], s13, v11, v[134:135]
	v_add_u32_e32 v11, 0x42, v5
	v_mad_u64_u32 v[146:147], s[44:45], s12, v11, 0
	v_mov_b32_e32 v145, v134
	;; [unrolled: 5-line block ×5, first 2 shown]
	v_mov_b32_e32 v134, v153
	v_add_u32_e32 v5, 0x6e, v5
	v_mad_u64_u32 v[134:135], s[44:45], s13, v11, v[134:135]
	v_mad_u64_u32 v[154:155], s[44:45], s12, v5, 0
	v_mov_b32_e32 v153, v134
	v_mov_b32_e32 v134, v155
	v_mad_u64_u32 v[134:135], s[12:13], s13, v5, v[134:135]
	v_add_f32_e32 v5, v40, v3
	v_add_f32_e32 v5, v5, v34
	;; [unrolled: 1-line block ×20, first 2 shown]
	v_mul_f32_e32 v4, v10, v17
	v_fma_f32 v5, v11, v31, -v4
	v_mul_f32_e32 v4, v11, v17
	v_lshl_add_u64 v[158:159], v[0:1], 3, v[156:157]
	v_fmac_f32_e32 v4, v10, v31
	global_store_dwordx2 v[158:159], v[4:5], off
	v_pk_fma_f32 v[4:5], v[8:9], s[6:7], v[86:87] neg_lo:[0,0,1] neg_hi:[0,0,1]
	v_lshl_add_u64 v[160:161], v[122:123], 3, v[156:157]
	v_mov_b32_e32 v109, v5
	v_pk_fma_f32 v[4:5], v[48:49], s[4:5], v[88:89] neg_lo:[0,0,1] neg_hi:[0,0,1]
	v_pk_mul_f32 v[14:15], v[60:61], s[34:35]
	v_mov_b32_e32 v107, v5
	v_pk_fma_f32 v[4:5], v[50:51], s[0:1], v[94:95] neg_lo:[0,0,1] neg_hi:[0,0,1]
	v_pk_fma_f32 v[16:17], v[64:65], s[28:29], v[14:15] neg_lo:[1,0,0] neg_hi:[1,0,0]
	v_mov_b32_e32 v105, v5
	v_pk_fma_f32 v[4:5], v[56:57], s[36:37], v[96:97] neg_lo:[0,0,1] neg_hi:[0,0,1]
	v_pk_fma_f32 v[18:19], v[48:49], s[28:29], v[14:15]
	v_mov_b32_e32 v99, v5
	v_pk_fma_f32 v[4:5], v[66:67], s[8:9], v[100:101] neg_lo:[0,0,1] neg_hi:[0,0,1]
	v_pk_mul_f32 v[20:21], v[68:69], s[42:43]
	v_mov_b32_e32 v103, v5
	v_pk_add_f32 v[4:5], v[102:103], v[2:3]
	v_mov_b32_e32 v17, v19
	v_pk_add_f32 v[4:5], v[98:99], v[4:5]
	v_pk_fma_f32 v[22:23], v[70:71], s[38:39], v[20:21] neg_lo:[1,0,0] neg_hi:[1,0,0]
	v_pk_add_f32 v[4:5], v[104:105], v[4:5]
	v_pk_fma_f32 v[24:25], v[50:51], s[38:39], v[20:21]
	v_pk_add_f32 v[4:5], v[106:107], v[4:5]
	v_pk_mul_f32 v[26:27], v[72:73], s[14:15]
	v_pk_add_f32 v[4:5], v[108:109], v[4:5]
	v_mov_b32_e32 v23, v25
	v_pk_mul_f32 v[10:11], v[4:5], v[140:141] op_sel_hi:[1,0]
	v_pk_fma_f32 v[28:29], v[74:75], s[4:5], v[26:27] neg_lo:[1,0,0] neg_hi:[1,0,0]
	v_pk_fma_f32 v[12:13], v[4:5], v[142:143], v[10:11] op_sel:[0,0,1] op_sel_hi:[1,1,0]
	v_pk_fma_f32 v[4:5], v[4:5], v[142:143], v[10:11] op_sel:[0,0,1] op_sel_hi:[1,0,0] neg_lo:[0,0,1] neg_hi:[0,0,1]
	v_pk_fma_f32 v[30:31], v[56:57], s[4:5], v[26:27]
	v_mov_b32_e32 v13, v5
	v_pk_mul_f32 v[4:5], v[52:53], s[26:27]
	global_store_dwordx2 v[160:161], v[12:13], off
	v_pk_fma_f32 v[10:11], v[54:55], s[22:23], v[4:5] neg_lo:[1,0,0] neg_hi:[1,0,0]
	v_pk_fma_f32 v[12:13], v[8:9], s[22:23], v[4:5]
	v_pk_fma_f32 v[4:5], v[8:9], s[22:23], v[4:5] neg_lo:[0,0,1] neg_hi:[0,0,1]
	v_mov_b32_e32 v11, v13
	v_mov_b32_e32 v13, v5
	v_pk_fma_f32 v[4:5], v[48:49], s[28:29], v[14:15] neg_lo:[0,0,1] neg_hi:[0,0,1]
	v_pk_mul_f32 v[32:33], v[76:77], s[40:41]
	v_mov_b32_e32 v19, v5
	v_pk_fma_f32 v[4:5], v[50:51], s[38:39], v[20:21] neg_lo:[0,0,1] neg_hi:[0,0,1]
	v_mov_b32_e32 v29, v31
	v_mov_b32_e32 v25, v5
	v_pk_fma_f32 v[4:5], v[56:57], s[4:5], v[26:27] neg_lo:[0,0,1] neg_hi:[0,0,1]
	v_pk_fma_f32 v[34:35], v[78:79], s[36:37], v[32:33] neg_lo:[1,0,0] neg_hi:[1,0,0]
	v_pk_fma_f32 v[36:37], v[66:67], s[36:37], v[32:33]
	v_mov_b32_e32 v31, v5
	v_pk_fma_f32 v[4:5], v[66:67], s[36:37], v[32:33] neg_lo:[0,0,1] neg_hi:[0,0,1]
	v_mov_b32_e32 v35, v37
	v_mov_b32_e32 v37, v5
	v_pk_add_f32 v[4:5], v[36:37], v[2:3]
	v_pk_add_f32 v[34:35], v[34:35], v[2:3]
	;; [unrolled: 1-line block ×10, first 2 shown]
	v_pk_mul_f32 v[12:13], v[4:5], v[136:137] op_sel_hi:[1,0]
	v_lshl_add_u64 v[162:163], v[124:125], 3, v[156:157]
	v_pk_fma_f32 v[14:15], v[4:5], v[138:139], v[12:13] op_sel:[0,0,1] op_sel_hi:[1,1,0]
	v_pk_fma_f32 v[4:5], v[4:5], v[138:139], v[12:13] op_sel:[0,0,1] op_sel_hi:[1,0,0] neg_lo:[0,0,1] neg_hi:[0,0,1]
	v_pk_mul_f32 v[16:17], v[10:11], v[82:83] op_sel_hi:[1,0]
	v_mov_b32_e32 v15, v5
	v_pk_mul_f32 v[4:5], v[52:53], s[14:15]
	v_pk_fma_f32 v[22:23], v[10:11], v[80:81], v[16:17] op_sel:[0,0,1] op_sel_hi:[1,1,0]
	v_pk_fma_f32 v[10:11], v[10:11], v[80:81], v[16:17] op_sel:[0,0,1] op_sel_hi:[1,0,0] neg_lo:[0,0,1] neg_hi:[0,0,1]
	global_store_dwordx2 v[162:163], v[14:15], off
	v_pk_fma_f32 v[12:13], v[54:55], s[4:5], v[4:5] neg_lo:[1,0,0] neg_hi:[1,0,0]
	v_pk_fma_f32 v[14:15], v[8:9], s[4:5], v[4:5]
	v_pk_mul_f32 v[16:17], v[60:61], s[20:21]
	v_pk_fma_f32 v[4:5], v[8:9], s[4:5], v[4:5] neg_lo:[0,0,1] neg_hi:[0,0,1]
	v_mov_b32_e32 v13, v15
	v_pk_fma_f32 v[18:19], v[64:65], s[8:9], v[16:17] neg_lo:[1,0,0] neg_hi:[1,0,0]
	v_pk_fma_f32 v[20:21], v[48:49], s[8:9], v[16:17]
	v_pk_mul_f32 v[24:25], v[68:69], s[30:31]
	v_mov_b32_e32 v15, v5
	v_pk_fma_f32 v[4:5], v[48:49], s[8:9], v[16:17] neg_lo:[0,0,1] neg_hi:[0,0,1]
	v_mov_b32_e32 v19, v21
	v_pk_fma_f32 v[26:27], v[70:71], s[24:25], v[24:25] neg_lo:[1,0,0] neg_hi:[1,0,0]
	v_pk_fma_f32 v[28:29], v[50:51], s[24:25], v[24:25]
	v_pk_mul_f32 v[30:31], v[72:73], s[42:43]
	v_mov_b32_e32 v21, v5
	;; [unrolled: 6-line block ×3, first 2 shown]
	v_pk_fma_f32 v[4:5], v[56:57], s[38:39], v[30:31] neg_lo:[0,0,1] neg_hi:[0,0,1]
	v_mov_b32_e32 v33, v35
	v_pk_fma_f32 v[38:39], v[78:79], s[0:1], v[36:37] neg_lo:[1,0,0] neg_hi:[1,0,0]
	v_pk_fma_f32 v[40:41], v[66:67], s[0:1], v[36:37]
	v_mov_b32_e32 v35, v5
	v_pk_fma_f32 v[4:5], v[66:67], s[0:1], v[36:37] neg_lo:[0,0,1] neg_hi:[0,0,1]
	v_mov_b32_e32 v39, v41
	v_mov_b32_e32 v41, v5
	v_pk_add_f32 v[4:5], v[40:41], v[2:3]
	v_pk_add_f32 v[38:39], v[38:39], v[2:3]
	;; [unrolled: 1-line block ×10, first 2 shown]
	v_pk_mul_f32 v[14:15], v[4:5], v[130:131] op_sel_hi:[1,0]
	v_lshl_add_u64 v[164:165], v[126:127], 3, v[156:157]
	v_pk_fma_f32 v[16:17], v[4:5], v[132:133], v[14:15] op_sel:[0,0,1] op_sel_hi:[1,1,0]
	v_pk_fma_f32 v[4:5], v[4:5], v[132:133], v[14:15] op_sel:[0,0,1] op_sel_hi:[1,0,0] neg_lo:[0,0,1] neg_hi:[0,0,1]
	v_pk_mul_f32 v[18:19], v[12:13], v[118:119] op_sel_hi:[1,0]
	v_mov_b32_e32 v17, v5
	v_pk_mul_f32 v[4:5], v[52:53], s[30:31]
	v_pk_fma_f32 v[26:27], v[12:13], v[120:121], v[18:19] op_sel:[0,0,1] op_sel_hi:[1,1,0]
	v_pk_fma_f32 v[12:13], v[12:13], v[120:121], v[18:19] op_sel:[0,0,1] op_sel_hi:[1,0,0] neg_lo:[0,0,1] neg_hi:[0,0,1]
	global_store_dwordx2 v[164:165], v[16:17], off
	v_pk_fma_f32 v[14:15], v[54:55], s[24:25], v[4:5] neg_lo:[1,0,0] neg_hi:[1,0,0]
	v_pk_fma_f32 v[16:17], v[8:9], s[24:25], v[4:5]
	v_pk_mul_f32 v[18:19], v[60:61], s[18:19]
	v_pk_fma_f32 v[4:5], v[8:9], s[24:25], v[4:5] neg_lo:[0,0,1] neg_hi:[0,0,1]
	v_mov_b32_e32 v15, v17
	v_pk_fma_f32 v[20:21], v[64:65], s[6:7], v[18:19] neg_lo:[1,0,0] neg_hi:[1,0,0]
	v_pk_fma_f32 v[24:25], v[48:49], s[6:7], v[18:19]
	v_pk_mul_f32 v[28:29], v[68:69], s[20:21]
	v_mov_b32_e32 v17, v5
	v_pk_fma_f32 v[4:5], v[48:49], s[6:7], v[18:19] neg_lo:[0,0,1] neg_hi:[0,0,1]
	v_mov_b32_e32 v21, v25
	v_pk_fma_f32 v[30:31], v[70:71], s[8:9], v[28:29] neg_lo:[1,0,0] neg_hi:[1,0,0]
	v_pk_fma_f32 v[32:33], v[50:51], s[8:9], v[28:29]
	v_pk_mul_f32 v[34:35], v[72:73], s[34:35]
	v_mov_b32_e32 v25, v5
	;; [unrolled: 6-line block ×3, first 2 shown]
	v_pk_fma_f32 v[4:5], v[56:57], s[28:29], v[34:35] neg_lo:[0,0,1] neg_hi:[0,0,1]
	v_mov_b32_e32 v37, v39
	v_pk_fma_f32 v[42:43], v[78:79], s[4:5], v[40:41] neg_lo:[1,0,0] neg_hi:[1,0,0]
	v_pk_fma_f32 v[44:45], v[66:67], s[4:5], v[40:41]
	v_mov_b32_e32 v39, v5
	v_pk_fma_f32 v[4:5], v[66:67], s[4:5], v[40:41] neg_lo:[0,0,1] neg_hi:[0,0,1]
	v_mov_b32_e32 v43, v45
	v_mov_b32_e32 v45, v5
	v_pk_add_f32 v[4:5], v[44:45], v[2:3]
	v_pk_add_f32 v[42:43], v[42:43], v[2:3]
	;; [unrolled: 1-line block ×10, first 2 shown]
	v_pk_mul_f32 v[16:17], v[4:5], v[114:115] op_sel_hi:[1,0]
	v_mov_b32_e32 v155, v134
	v_pk_fma_f32 v[18:19], v[4:5], v[116:117], v[16:17] op_sel:[0,0,1] op_sel_hi:[1,1,0]
	v_pk_fma_f32 v[4:5], v[4:5], v[116:117], v[16:17] op_sel:[0,0,1] op_sel_hi:[1,0,0] neg_lo:[0,0,1] neg_hi:[0,0,1]
	v_lshl_add_u64 v[134:135], v[128:129], 3, v[156:157]
	v_pk_mul_f32 v[20:21], v[14:15], v[110:111] op_sel_hi:[1,0]
	v_mov_b32_e32 v19, v5
	v_pk_mul_f32 v[4:5], v[52:53], s[10:11]
	v_pk_fma_f32 v[30:31], v[14:15], v[112:113], v[20:21] op_sel:[0,0,1] op_sel_hi:[1,1,0]
	v_pk_fma_f32 v[14:15], v[14:15], v[112:113], v[20:21] op_sel:[0,0,1] op_sel_hi:[1,0,0] neg_lo:[0,0,1] neg_hi:[0,0,1]
	global_store_dwordx2 v[134:135], v[18:19], off
	v_pk_fma_f32 v[16:17], v[54:55], s[0:1], v[4:5] neg_lo:[1,0,0] neg_hi:[1,0,0]
	v_pk_fma_f32 v[18:19], v[8:9], s[0:1], v[4:5]
	v_pk_mul_f32 v[20:21], v[60:61], s[30:31]
	v_pk_fma_f32 v[4:5], v[8:9], s[0:1], v[4:5] neg_lo:[0,0,1] neg_hi:[0,0,1]
	v_mov_b32_e32 v17, v19
	v_pk_fma_f32 v[24:25], v[64:65], s[24:25], v[20:21] neg_lo:[1,0,0] neg_hi:[1,0,0]
	v_pk_fma_f32 v[28:29], v[48:49], s[24:25], v[20:21]
	v_pk_mul_f32 v[32:33], v[68:69], s[14:15]
	v_mov_b32_e32 v19, v5
	v_pk_fma_f32 v[4:5], v[48:49], s[24:25], v[20:21] neg_lo:[0,0,1] neg_hi:[0,0,1]
	v_mov_b32_e32 v25, v29
	v_pk_fma_f32 v[34:35], v[70:71], s[4:5], v[32:33] neg_lo:[1,0,0] neg_hi:[1,0,0]
	v_pk_fma_f32 v[36:37], v[50:51], s[4:5], v[32:33]
	v_pk_mul_f32 v[38:39], v[72:73], s[26:27]
	v_mov_b32_e32 v29, v5
	;; [unrolled: 6-line block ×3, first 2 shown]
	v_pk_fma_f32 v[4:5], v[56:57], s[22:23], v[38:39] neg_lo:[0,0,1] neg_hi:[0,0,1]
	v_mov_b32_e32 v41, v43
	v_pk_fma_f32 v[46:47], v[78:79], s[6:7], v[44:45] neg_lo:[1,0,0] neg_hi:[1,0,0]
	v_pk_fma_f32 v[52:53], v[66:67], s[6:7], v[44:45]
	v_mov_b32_e32 v43, v5
	v_pk_fma_f32 v[4:5], v[66:67], s[6:7], v[44:45] neg_lo:[0,0,1] neg_hi:[0,0,1]
	v_mov_b32_e32 v47, v53
	v_mov_b32_e32 v53, v5
	v_pk_add_f32 v[46:47], v[46:47], v[2:3]
	v_pk_add_f32 v[2:3], v[52:53], v[2:3]
	;; [unrolled: 1-line block ×10, first 2 shown]
	v_pk_mul_f32 v[24:25], v[16:17], v[90:91] op_sel_hi:[1,0]
	v_pk_mul_f32 v[4:5], v[2:3], v[62:63] op_sel_hi:[1,0]
	v_pk_fma_f32 v[34:35], v[16:17], v[92:93], v[24:25] op_sel:[0,0,1] op_sel_hi:[1,1,0]
	v_pk_fma_f32 v[16:17], v[16:17], v[92:93], v[24:25] op_sel:[0,0,1] op_sel_hi:[1,0,0] neg_lo:[0,0,1] neg_hi:[0,0,1]
	v_pk_fma_f32 v[8:9], v[2:3], v[84:85], v[4:5] op_sel:[0,0,1] op_sel_hi:[1,1,0]
	v_pk_fma_f32 v[2:3], v[2:3], v[84:85], v[4:5] op_sel:[0,0,1] op_sel_hi:[1,0,0] neg_lo:[0,0,1] neg_hi:[0,0,1]
	v_lshl_add_u64 v[128:129], v[144:145], 3, v[156:157]
	v_lshl_add_u64 v[126:127], v[146:147], 3, v[156:157]
	;; [unrolled: 1-line block ×6, first 2 shown]
	v_mov_b32_e32 v9, v3
	v_mov_b32_e32 v35, v17
	;; [unrolled: 1-line block ×5, first 2 shown]
	global_store_dwordx2 v[128:129], v[8:9], off
	global_store_dwordx2 v[126:127], v[34:35], off
	;; [unrolled: 1-line block ×6, first 2 shown]
.LBB0_39:
	s_endpgm
	.section	.rodata,"a",@progbits
	.p2align	6, 0x0
	.amdhsa_kernel fft_rtc_back_len121_factors_11_11_wgs_121_tpt_11_sp_ip_CI_sbcc_twdbase6_3step_dirReg_intrinsicRead
		.amdhsa_group_segment_fixed_size 0
		.amdhsa_private_segment_fixed_size 0
		.amdhsa_kernarg_size 96
		.amdhsa_user_sgpr_count 2
		.amdhsa_user_sgpr_dispatch_ptr 0
		.amdhsa_user_sgpr_queue_ptr 0
		.amdhsa_user_sgpr_kernarg_segment_ptr 1
		.amdhsa_user_sgpr_dispatch_id 0
		.amdhsa_user_sgpr_kernarg_preload_length 0
		.amdhsa_user_sgpr_kernarg_preload_offset 0
		.amdhsa_user_sgpr_private_segment_size 0
		.amdhsa_uses_dynamic_stack 0
		.amdhsa_enable_private_segment 0
		.amdhsa_system_sgpr_workgroup_id_x 1
		.amdhsa_system_sgpr_workgroup_id_y 0
		.amdhsa_system_sgpr_workgroup_id_z 0
		.amdhsa_system_sgpr_workgroup_info 0
		.amdhsa_system_vgpr_workitem_id 0
		.amdhsa_next_free_vgpr 166
		.amdhsa_next_free_sgpr 50
		.amdhsa_accum_offset 168
		.amdhsa_reserve_vcc 1
		.amdhsa_float_round_mode_32 0
		.amdhsa_float_round_mode_16_64 0
		.amdhsa_float_denorm_mode_32 3
		.amdhsa_float_denorm_mode_16_64 3
		.amdhsa_dx10_clamp 1
		.amdhsa_ieee_mode 1
		.amdhsa_fp16_overflow 0
		.amdhsa_tg_split 0
		.amdhsa_exception_fp_ieee_invalid_op 0
		.amdhsa_exception_fp_denorm_src 0
		.amdhsa_exception_fp_ieee_div_zero 0
		.amdhsa_exception_fp_ieee_overflow 0
		.amdhsa_exception_fp_ieee_underflow 0
		.amdhsa_exception_fp_ieee_inexact 0
		.amdhsa_exception_int_div_zero 0
	.end_amdhsa_kernel
	.text
.Lfunc_end0:
	.size	fft_rtc_back_len121_factors_11_11_wgs_121_tpt_11_sp_ip_CI_sbcc_twdbase6_3step_dirReg_intrinsicRead, .Lfunc_end0-fft_rtc_back_len121_factors_11_11_wgs_121_tpt_11_sp_ip_CI_sbcc_twdbase6_3step_dirReg_intrinsicRead
                                        ; -- End function
	.section	.AMDGPU.csdata,"",@progbits
; Kernel info:
; codeLenInByte = 8744
; NumSgprs: 56
; NumVgprs: 166
; NumAgprs: 0
; TotalNumVgprs: 166
; ScratchSize: 0
; MemoryBound: 0
; FloatMode: 240
; IeeeMode: 1
; LDSByteSize: 0 bytes/workgroup (compile time only)
; SGPRBlocks: 6
; VGPRBlocks: 20
; NumSGPRsForWavesPerEU: 56
; NumVGPRsForWavesPerEU: 166
; AccumOffset: 168
; Occupancy: 3
; WaveLimiterHint : 1
; COMPUTE_PGM_RSRC2:SCRATCH_EN: 0
; COMPUTE_PGM_RSRC2:USER_SGPR: 2
; COMPUTE_PGM_RSRC2:TRAP_HANDLER: 0
; COMPUTE_PGM_RSRC2:TGID_X_EN: 1
; COMPUTE_PGM_RSRC2:TGID_Y_EN: 0
; COMPUTE_PGM_RSRC2:TGID_Z_EN: 0
; COMPUTE_PGM_RSRC2:TIDIG_COMP_CNT: 0
; COMPUTE_PGM_RSRC3_GFX90A:ACCUM_OFFSET: 41
; COMPUTE_PGM_RSRC3_GFX90A:TG_SPLIT: 0
	.text
	.p2alignl 6, 3212836864
	.fill 256, 4, 3212836864
	.type	__hip_cuid_e9f18dfa8bcf66c2,@object ; @__hip_cuid_e9f18dfa8bcf66c2
	.section	.bss,"aw",@nobits
	.globl	__hip_cuid_e9f18dfa8bcf66c2
__hip_cuid_e9f18dfa8bcf66c2:
	.byte	0                               ; 0x0
	.size	__hip_cuid_e9f18dfa8bcf66c2, 1

	.ident	"AMD clang version 19.0.0git (https://github.com/RadeonOpenCompute/llvm-project roc-6.4.0 25133 c7fe45cf4b819c5991fe208aaa96edf142730f1d)"
	.section	".note.GNU-stack","",@progbits
	.addrsig
	.addrsig_sym __hip_cuid_e9f18dfa8bcf66c2
	.amdgpu_metadata
---
amdhsa.kernels:
  - .agpr_count:     0
    .args:
      - .actual_access:  read_only
        .address_space:  global
        .offset:         0
        .size:           8
        .value_kind:     global_buffer
      - .address_space:  global
        .offset:         8
        .size:           8
        .value_kind:     global_buffer
      - .offset:         16
        .size:           8
        .value_kind:     by_value
      - .actual_access:  read_only
        .address_space:  global
        .offset:         24
        .size:           8
        .value_kind:     global_buffer
      - .actual_access:  read_only
        .address_space:  global
        .offset:         32
        .size:           8
        .value_kind:     global_buffer
      - .offset:         40
        .size:           8
        .value_kind:     by_value
      - .actual_access:  read_only
        .address_space:  global
        .offset:         48
        .size:           8
        .value_kind:     global_buffer
      - .actual_access:  read_only
        .address_space:  global
        .offset:         56
        .size:           8
        .value_kind:     global_buffer
      - .offset:         64
        .size:           4
        .value_kind:     by_value
      - .actual_access:  read_only
        .address_space:  global
        .offset:         72
        .size:           8
        .value_kind:     global_buffer
      - .actual_access:  read_only
        .address_space:  global
        .offset:         80
        .size:           8
        .value_kind:     global_buffer
      - .address_space:  global
        .offset:         88
        .size:           8
        .value_kind:     global_buffer
    .group_segment_fixed_size: 0
    .kernarg_segment_align: 8
    .kernarg_segment_size: 96
    .language:       OpenCL C
    .language_version:
      - 2
      - 0
    .max_flat_workgroup_size: 121
    .name:           fft_rtc_back_len121_factors_11_11_wgs_121_tpt_11_sp_ip_CI_sbcc_twdbase6_3step_dirReg_intrinsicRead
    .private_segment_fixed_size: 0
    .sgpr_count:     56
    .sgpr_spill_count: 0
    .symbol:         fft_rtc_back_len121_factors_11_11_wgs_121_tpt_11_sp_ip_CI_sbcc_twdbase6_3step_dirReg_intrinsicRead.kd
    .uniform_work_group_size: 1
    .uses_dynamic_stack: false
    .vgpr_count:     166
    .vgpr_spill_count: 0
    .wavefront_size: 64
amdhsa.target:   amdgcn-amd-amdhsa--gfx950
amdhsa.version:
  - 1
  - 2
...

	.end_amdgpu_metadata
